;; amdgpu-corpus repo=ROCm/rocFFT kind=compiled arch=gfx950 opt=O3
	.text
	.amdgcn_target "amdgcn-amd-amdhsa--gfx950"
	.amdhsa_code_object_version 6
	.protected	fft_rtc_fwd_len770_factors_11_10_7_wgs_220_tpt_110_sp_op_CI_CI_unitstride_sbrr_dirReg ; -- Begin function fft_rtc_fwd_len770_factors_11_10_7_wgs_220_tpt_110_sp_op_CI_CI_unitstride_sbrr_dirReg
	.globl	fft_rtc_fwd_len770_factors_11_10_7_wgs_220_tpt_110_sp_op_CI_CI_unitstride_sbrr_dirReg
	.p2align	8
	.type	fft_rtc_fwd_len770_factors_11_10_7_wgs_220_tpt_110_sp_op_CI_CI_unitstride_sbrr_dirReg,@function
fft_rtc_fwd_len770_factors_11_10_7_wgs_220_tpt_110_sp_op_CI_CI_unitstride_sbrr_dirReg: ; @fft_rtc_fwd_len770_factors_11_10_7_wgs_220_tpt_110_sp_op_CI_CI_unitstride_sbrr_dirReg
; %bb.0:
	s_load_dwordx4 s[4:7], s[0:1], 0x58
	s_load_dwordx4 s[8:11], s[0:1], 0x0
	;; [unrolled: 1-line block ×3, first 2 shown]
	v_mul_u32_u24_e32 v1, 0x254, v0
	v_lshrrev_b32_e32 v1, 16, v1
	v_lshl_add_u32 v10, s2, 1, v1
	v_mov_b32_e32 v6, 0
	s_waitcnt lgkmcnt(0)
	v_cmp_lt_u64_e64 s[2:3], s[10:11], 2
	v_mov_b32_e32 v11, v6
	s_and_b64 vcc, exec, s[2:3]
	v_mov_b64_e32 v[8:9], 0
	s_cbranch_vccnz .LBB0_8
; %bb.1:
	s_load_dwordx2 s[2:3], s[0:1], 0x10
	s_add_u32 s16, s14, 8
	s_addc_u32 s17, s15, 0
	s_add_u32 s18, s12, 8
	s_addc_u32 s19, s13, 0
	s_waitcnt lgkmcnt(0)
	s_add_u32 s20, s2, 8
	v_mov_b64_e32 v[8:9], 0
	s_addc_u32 s21, s3, 0
	s_mov_b64 s[22:23], 1
	v_mov_b64_e32 v[2:3], v[8:9]
.LBB0_2:                                ; =>This Inner Loop Header: Depth=1
	s_load_dwordx2 s[24:25], s[20:21], 0x0
                                        ; implicit-def: $vgpr4_vgpr5
	s_waitcnt lgkmcnt(0)
	v_or_b32_e32 v7, s25, v11
	v_cmp_ne_u64_e32 vcc, 0, v[6:7]
	s_and_saveexec_b64 s[2:3], vcc
	s_xor_b64 s[26:27], exec, s[2:3]
	s_cbranch_execz .LBB0_4
; %bb.3:                                ;   in Loop: Header=BB0_2 Depth=1
	v_cvt_f32_u32_e32 v4, s24
	v_cvt_f32_u32_e32 v5, s25
	s_sub_u32 s2, 0, s24
	s_subb_u32 s3, 0, s25
	v_fmac_f32_e32 v4, 0x4f800000, v5
	v_rcp_f32_e32 v4, v4
	s_nop 0
	v_mul_f32_e32 v4, 0x5f7ffffc, v4
	v_mul_f32_e32 v5, 0x2f800000, v4
	v_trunc_f32_e32 v5, v5
	v_fmac_f32_e32 v4, 0xcf800000, v5
	v_cvt_u32_f32_e32 v7, v5
	v_cvt_u32_f32_e32 v14, v4
	v_mul_lo_u32 v4, s2, v7
	v_mul_hi_u32 v12, s2, v14
	v_mul_lo_u32 v5, s3, v14
	v_add_u32_e32 v12, v12, v4
	v_mul_lo_u32 v15, s2, v14
	v_add_u32_e32 v16, v12, v5
	v_mul_hi_u32 v4, v14, v15
	v_mul_hi_u32 v13, v14, v16
	v_mul_lo_u32 v12, v14, v16
	v_mov_b32_e32 v5, v6
	v_lshl_add_u64 v[4:5], v[4:5], 0, v[12:13]
	v_mul_hi_u32 v13, v7, v15
	v_mul_lo_u32 v15, v7, v15
	v_add_co_u32_e32 v4, vcc, v4, v15
	v_mul_hi_u32 v12, v7, v16
	s_nop 0
	v_addc_co_u32_e32 v4, vcc, v5, v13, vcc
	v_mov_b32_e32 v5, v6
	s_nop 0
	v_addc_co_u32_e32 v13, vcc, 0, v12, vcc
	v_mul_lo_u32 v12, v7, v16
	v_lshl_add_u64 v[4:5], v[4:5], 0, v[12:13]
	v_add_co_u32_e32 v14, vcc, v14, v4
	v_mul_lo_u32 v12, s2, v14
	s_nop 0
	v_addc_co_u32_e32 v7, vcc, v7, v5, vcc
	v_mul_lo_u32 v4, s2, v7
	v_mul_hi_u32 v5, s2, v14
	v_add_u32_e32 v4, v5, v4
	v_mul_lo_u32 v5, s3, v14
	v_add_u32_e32 v15, v4, v5
	v_mul_hi_u32 v17, v7, v12
	v_mul_lo_u32 v18, v7, v12
	v_mul_hi_u32 v5, v14, v15
	v_mul_lo_u32 v4, v14, v15
	v_mul_hi_u32 v12, v14, v12
	v_mov_b32_e32 v13, v6
	v_lshl_add_u64 v[4:5], v[12:13], 0, v[4:5]
	v_add_co_u32_e32 v4, vcc, v4, v18
	v_mul_hi_u32 v16, v7, v15
	s_nop 0
	v_addc_co_u32_e32 v4, vcc, v5, v17, vcc
	v_mul_lo_u32 v12, v7, v15
	s_nop 0
	v_addc_co_u32_e32 v13, vcc, 0, v16, vcc
	v_mov_b32_e32 v5, v6
	v_lshl_add_u64 v[4:5], v[4:5], 0, v[12:13]
	v_add_co_u32_e32 v14, vcc, v14, v4
	v_mul_hi_u32 v12, v10, v14
	s_nop 0
	v_addc_co_u32_e32 v7, vcc, v7, v5, vcc
	v_mad_u64_u32 v[4:5], s[2:3], v10, v7, 0
	v_mov_b32_e32 v13, v6
	v_lshl_add_u64 v[4:5], v[12:13], 0, v[4:5]
	v_mad_u64_u32 v[14:15], s[2:3], v11, v14, 0
	v_add_co_u32_e32 v4, vcc, v4, v14
	v_mad_u64_u32 v[12:13], s[2:3], v11, v7, 0
	s_nop 0
	v_addc_co_u32_e32 v4, vcc, v5, v15, vcc
	v_mov_b32_e32 v5, v6
	s_nop 0
	v_addc_co_u32_e32 v13, vcc, 0, v13, vcc
	v_lshl_add_u64 v[4:5], v[4:5], 0, v[12:13]
	v_mul_lo_u32 v7, s25, v4
	v_mul_lo_u32 v14, s24, v5
	v_mad_u64_u32 v[12:13], s[2:3], s24, v4, 0
	v_add3_u32 v7, v13, v14, v7
	v_sub_u32_e32 v13, v11, v7
	v_mov_b32_e32 v14, s25
	v_sub_co_u32_e32 v16, vcc, v10, v12
	s_nop 1
	v_subb_co_u32_e64 v12, s[2:3], v13, v14, vcc
	v_subrev_co_u32_e64 v13, s[2:3], s24, v16
	v_subb_co_u32_e32 v7, vcc, v11, v7, vcc
	s_nop 0
	v_subbrev_co_u32_e64 v12, s[2:3], 0, v12, s[2:3]
	v_cmp_le_u32_e64 s[2:3], s25, v12
	v_cmp_le_u32_e32 vcc, s25, v7
	s_nop 0
	v_cndmask_b32_e64 v14, 0, -1, s[2:3]
	v_cmp_le_u32_e64 s[2:3], s24, v13
	s_nop 1
	v_cndmask_b32_e64 v13, 0, -1, s[2:3]
	v_cmp_eq_u32_e64 s[2:3], s25, v12
	s_nop 1
	v_cndmask_b32_e64 v17, v14, v13, s[2:3]
	v_lshl_add_u64 v[12:13], v[4:5], 0, 2
	v_lshl_add_u64 v[14:15], v[4:5], 0, 1
	v_cmp_ne_u32_e64 s[2:3], 0, v17
	s_nop 1
	v_cndmask_b32_e64 v13, v15, v13, s[2:3]
	v_cndmask_b32_e64 v15, 0, -1, vcc
	v_cmp_le_u32_e32 vcc, s24, v16
	s_nop 1
	v_cndmask_b32_e64 v16, 0, -1, vcc
	v_cmp_eq_u32_e32 vcc, s25, v7
	s_nop 1
	v_cndmask_b32_e32 v7, v15, v16, vcc
	v_cmp_ne_u32_e32 vcc, 0, v7
	v_cndmask_b32_e64 v7, v14, v12, s[2:3]
	s_nop 0
	v_cndmask_b32_e32 v5, v5, v13, vcc
	v_cndmask_b32_e32 v4, v4, v7, vcc
.LBB0_4:                                ;   in Loop: Header=BB0_2 Depth=1
	s_andn2_saveexec_b64 s[2:3], s[26:27]
	s_cbranch_execz .LBB0_6
; %bb.5:                                ;   in Loop: Header=BB0_2 Depth=1
	v_cvt_f32_u32_e32 v4, s24
	s_sub_i32 s26, 0, s24
	v_rcp_iflag_f32_e32 v4, v4
	s_nop 0
	v_mul_f32_e32 v4, 0x4f7ffffe, v4
	v_cvt_u32_f32_e32 v4, v4
	v_mul_lo_u32 v5, s26, v4
	v_mul_hi_u32 v5, v4, v5
	v_add_u32_e32 v4, v4, v5
	v_mul_hi_u32 v4, v10, v4
	v_mul_lo_u32 v5, v4, s24
	v_sub_u32_e32 v5, v10, v5
	v_add_u32_e32 v7, 1, v4
	v_subrev_u32_e32 v12, s24, v5
	v_cmp_le_u32_e32 vcc, s24, v5
	s_nop 1
	v_cndmask_b32_e32 v5, v5, v12, vcc
	v_cndmask_b32_e32 v4, v4, v7, vcc
	v_add_u32_e32 v7, 1, v4
	v_cmp_le_u32_e32 vcc, s24, v5
	v_mov_b32_e32 v5, v6
	s_nop 0
	v_cndmask_b32_e32 v4, v4, v7, vcc
.LBB0_6:                                ;   in Loop: Header=BB0_2 Depth=1
	s_or_b64 exec, exec, s[2:3]
	v_mad_u64_u32 v[12:13], s[2:3], v4, s24, 0
	s_load_dwordx2 s[2:3], s[18:19], 0x0
	v_mul_lo_u32 v7, v5, s24
	v_mul_lo_u32 v14, v4, s25
	s_load_dwordx2 s[24:25], s[16:17], 0x0
	s_add_u32 s22, s22, 1
	v_add3_u32 v7, v13, v14, v7
	v_sub_co_u32_e32 v10, vcc, v10, v12
	s_addc_u32 s23, s23, 0
	s_nop 0
	v_subb_co_u32_e32 v7, vcc, v11, v7, vcc
	s_add_u32 s16, s16, 8
	s_waitcnt lgkmcnt(0)
	v_mul_lo_u32 v11, s2, v7
	v_mul_lo_u32 v12, s3, v10
	v_mad_u64_u32 v[8:9], s[2:3], s2, v10, v[8:9]
	s_addc_u32 s17, s17, 0
	v_add3_u32 v9, v12, v9, v11
	v_mul_lo_u32 v7, s24, v7
	v_mul_lo_u32 v11, s25, v10
	v_mad_u64_u32 v[2:3], s[2:3], s24, v10, v[2:3]
	s_add_u32 s18, s18, 8
	v_add3_u32 v3, v11, v3, v7
	s_addc_u32 s19, s19, 0
	v_mov_b64_e32 v[10:11], s[10:11]
	s_add_u32 s20, s20, 8
	v_cmp_ge_u64_e32 vcc, s[22:23], v[10:11]
	s_addc_u32 s21, s21, 0
	s_cbranch_vccnz .LBB0_9
; %bb.7:                                ;   in Loop: Header=BB0_2 Depth=1
	v_mov_b64_e32 v[10:11], v[4:5]
	s_branch .LBB0_2
.LBB0_8:
	v_mov_b64_e32 v[2:3], v[8:9]
	v_mov_b64_e32 v[4:5], v[10:11]
.LBB0_9:
	s_load_dwordx2 s[0:1], s[0:1], 0x28
	s_lshl_b64 s[16:17], s[10:11], 3
	s_add_u32 s2, s14, s16
	s_addc_u32 s3, s15, s17
	s_load_dwordx2 s[2:3], s[2:3], 0x0
	s_waitcnt lgkmcnt(0)
	v_cmp_gt_u64_e32 vcc, s[0:1], v[4:5]
	s_mov_b32 s0, 0x253c826
	v_mul_hi_u32 v6, v0, s0
	v_mul_u32_u24_e32 v6, 0x6e, v6
	v_mov_b32_e32 v10, 0
	v_sub_u32_e32 v6, v0, v6
	v_mov_b32_e32 v0, 0
	v_mov_b32_e32 v11, v10
                                        ; implicit-def: $vgpr30
                                        ; implicit-def: $vgpr26
                                        ; implicit-def: $vgpr18
                                        ; implicit-def: $vgpr14
                                        ; implicit-def: $vgpr22
                                        ; implicit-def: $vgpr20
                                        ; implicit-def: $vgpr16
                                        ; implicit-def: $vgpr12
                                        ; implicit-def: $vgpr24
                                        ; implicit-def: $vgpr28
	s_and_saveexec_b64 s[10:11], vcc
	s_cbranch_execz .LBB0_13
; %bb.10:
	s_movk_i32 s0, 0x46
	v_cmp_gt_u32_e64 s[0:1], s0, v6
	v_mov_b32_e32 v11, 0
	v_mov_b32_e32 v10, 0
                                        ; implicit-def: $vgpr29
                                        ; implicit-def: $vgpr25
                                        ; implicit-def: $vgpr13
                                        ; implicit-def: $vgpr17
                                        ; implicit-def: $vgpr21
                                        ; implicit-def: $vgpr23
                                        ; implicit-def: $vgpr15
                                        ; implicit-def: $vgpr19
                                        ; implicit-def: $vgpr27
                                        ; implicit-def: $vgpr31
	s_and_saveexec_b64 s[14:15], s[0:1]
	s_cbranch_execz .LBB0_12
; %bb.11:
	s_add_u32 s0, s12, s16
	s_addc_u32 s1, s13, s17
	s_load_dwordx2 s[0:1], s[0:1], 0x0
	v_mov_b32_e32 v7, 0
	s_waitcnt lgkmcnt(0)
	v_mul_lo_u32 v0, s1, v4
	v_mul_lo_u32 v12, s0, v5
	v_mad_u64_u32 v[10:11], s[0:1], s0, v4, 0
	v_add3_u32 v11, v11, v12, v0
	v_lshl_add_u64 v[10:11], v[10:11], 3, s[4:5]
	v_lshl_add_u64 v[8:9], v[8:9], 3, v[10:11]
	;; [unrolled: 1-line block ×3, first 2 shown]
	global_load_dwordx2 v[10:11], v[8:9], off
	global_load_dwordx2 v[22:23], v[8:9], off offset:560
	global_load_dwordx2 v[20:21], v[8:9], off offset:1120
	;; [unrolled: 1-line block ×7, first 2 shown]
	s_movk_i32 s0, 0x1000
	v_add_co_u32_e64 v8, s[0:1], s0, v8
	s_nop 1
	v_addc_co_u32_e64 v9, s[0:1], 0, v9, s[0:1]
	global_load_dwordx2 v[18:19], v[8:9], off offset:384
	global_load_dwordx2 v[26:27], v[8:9], off offset:944
	;; [unrolled: 1-line block ×3, first 2 shown]
.LBB0_12:
	s_or_b64 exec, exec, s[14:15]
	v_mov_b32_e32 v0, v6
.LBB0_13:
	s_or_b64 exec, exec, s[10:11]
	s_waitcnt vmcnt(9)
	v_pk_add_f32 v[8:9], v[10:11], v[22:23]
	s_waitcnt vmcnt(0)
	v_pk_add_f32 v[54:55], v[22:23], v[30:31] neg_lo:[0,1] neg_hi:[0,1]
	v_pk_add_f32 v[8:9], v[8:9], v[20:21]
	s_mov_b32 s20, 0xbf0a6770
	v_pk_add_f32 v[8:9], v[8:9], v[16:17]
	v_pk_add_f32 v[48:49], v[24:25], v[28:29] neg_lo:[0,1] neg_hi:[0,1]
	v_pk_add_f32 v[8:9], v[8:9], v[12:13]
	v_pk_add_f32 v[50:51], v[24:25], v[28:29]
	;; [unrolled: 1-line block ×5, first 2 shown]
	s_mov_b32 s12, 0x3f575c64
	v_pk_add_f32 v[8:9], v[14:15], v[8:9]
	v_pk_mul_f32 v[24:25], v[54:55], s[20:21] op_sel_hi:[1,0]
	v_pk_add_f32 v[8:9], v[18:19], v[8:9]
	v_pk_add_f32 v[58:59], v[20:21], v[26:27] neg_lo:[0,1] neg_hi:[0,1]
	s_mov_b32 s24, 0xbf68dda4
	v_pk_add_f32 v[8:9], v[26:27], v[8:9]
	v_pk_fma_f32 v[22:23], v[52:53], s[12:13], v[24:25] op_sel:[0,0,1] op_sel_hi:[1,0,0] neg_lo:[0,0,1] neg_hi:[0,0,1]
	v_pk_fma_f32 v[24:25], v[52:53], s[12:13], v[24:25] op_sel:[0,0,1] op_sel_hi:[1,0,0]
	v_pk_add_f32 v[56:57], v[20:21], v[26:27]
	s_mov_b32 s0, 0x3ed4b147
	v_pk_mul_f32 v[20:21], v[58:59], s[24:25] op_sel_hi:[1,0]
	v_pk_add_f32 v[62:63], v[16:17], v[18:19] neg_lo:[0,1] neg_hi:[0,1]
	s_mov_b32 s4, 0xbf7d64f0
	v_pk_add_f32 v[8:9], v[30:31], v[8:9]
	v_mov_b32_e32 v28, v22
	v_mov_b32_e32 v29, v25
	v_pk_fma_f32 v[30:31], v[56:57], s[0:1], v[20:21] op_sel:[0,0,1] op_sel_hi:[1,0,0] neg_lo:[0,0,1] neg_hi:[0,0,1]
	v_pk_fma_f32 v[32:33], v[56:57], s[0:1], v[20:21] op_sel:[0,0,1] op_sel_hi:[1,0,0]
	v_pk_add_f32 v[60:61], v[16:17], v[18:19]
	s_mov_b32 s14, 0xbe11bafb
	v_pk_mul_f32 v[16:17], v[62:63], s[4:5] op_sel_hi:[1,0]
	v_pk_add_f32 v[66:67], v[12:13], v[14:15] neg_lo:[0,1] neg_hi:[0,1]
	s_mov_b32 s18, 0xbf4178ce
	s_mov_b32 s22, 0xbe903f40
	v_mov_b32_e32 v46, v50
	v_mov_b32_e32 v50, v49
	v_pk_add_f32 v[28:29], v[10:11], v[28:29]
	v_mov_b32_e32 v20, v30
	v_mov_b32_e32 v21, v33
	v_pk_fma_f32 v[34:35], v[60:61], s[14:15], v[16:17] op_sel:[0,0,1] op_sel_hi:[1,0,0] neg_lo:[0,0,1] neg_hi:[0,0,1]
	v_pk_fma_f32 v[36:37], v[60:61], s[14:15], v[16:17] op_sel:[0,0,1] op_sel_hi:[1,0,0]
	v_pk_add_f32 v[64:65], v[12:13], v[14:15]
	s_mov_b32 s16, 0xbf27a4f4
	v_pk_mul_f32 v[12:13], v[66:67], s[18:19] op_sel_hi:[1,0]
	s_mov_b32 s23, 0xbf75a155
	v_mov_b32_e32 v47, v48
	v_pk_add_f32 v[20:21], v[28:29], v[20:21]
	v_mov_b32_e32 v16, v34
	v_mov_b32_e32 v17, v37
	v_pk_fma_f32 v[38:39], v[64:65], s[16:17], v[12:13] op_sel:[0,0,1] op_sel_hi:[1,0,0] neg_lo:[0,0,1] neg_hi:[0,0,1]
	v_pk_fma_f32 v[40:41], v[64:65], s[16:17], v[12:13] op_sel:[0,0,1] op_sel_hi:[1,0,0]
	v_pk_mul_f32 v[42:43], v[50:51], s[22:23]
	s_mov_b32 s10, s23
	s_mov_b32 s11, s22
	v_pk_add_f32 v[16:17], v[20:21], v[16:17]
	v_mov_b32_e32 v12, v38
	v_mov_b32_e32 v13, v41
	v_pk_fma_f32 v[14:15], v[46:47], s[10:11], v[42:43] neg_lo:[0,0,1] neg_hi:[0,0,1]
	v_pk_fma_f32 v[44:45], v[46:47], s[10:11], v[42:43]
	v_pk_add_f32 v[12:13], v[16:17], v[12:13]
	v_mov_b32_e32 v15, v45
	v_mov_b32_e32 v18, v55
	v_mov_b32_e32 v19, v53
	s_mov_b32 s25, s0
	v_pk_add_f32 v[12:13], v[12:13], v[14:15]
	v_pk_mul_f32 v[14:15], v[18:19], s[24:25]
	v_mov_b32_e32 v20, v52
	v_mov_b32_e32 v21, v54
	s_mov_b32 s1, s24
	v_mov_b32_e32 v28, v59
	v_mov_b32_e32 v29, v57
	s_mov_b32 s19, s16
	v_pk_fma_f32 v[16:17], v[20:21], s[0:1], v[14:15] neg_lo:[1,0,0] neg_hi:[1,0,0]
	v_pk_fma_f32 v[26:27], v[20:21], s[0:1], v[14:15]
	v_mov_b32_e32 v68, v56
	v_mov_b32_e32 v69, v58
	s_mov_b32 s17, s18
	v_pk_mul_f32 v[70:71], v[28:29], s[18:19]
	v_mov_b32_e32 v16, v26
	v_pk_fma_f32 v[72:73], v[68:69], s[16:17], v[70:71] neg_lo:[1,0,0] neg_hi:[1,0,0]
	v_pk_fma_f32 v[74:75], v[68:69], s[16:17], v[70:71]
	v_pk_add_f32 v[16:17], v[10:11], v[16:17]
	v_mov_b32_e32 v72, v74
	v_pk_add_f32 v[16:17], v[16:17], v[72:73]
	v_mov_b32_e32 v72, v63
	v_mov_b32_e32 v73, v61
	s_mov_b32 s28, 0x3e903f40
	s_mov_b32 s29, s23
	v_mov_b32_e32 v76, v60
	v_mov_b32_e32 v77, v62
	s_mov_b32 s30, s23
	s_mov_b32 s31, s28
	v_pk_mul_f32 v[78:79], v[72:73], s[28:29]
	s_mov_b32 s26, 0x3f7d64f0
	v_pk_fma_f32 v[80:81], v[76:77], s[30:31], v[78:79] neg_lo:[1,0,0] neg_hi:[1,0,0]
	v_pk_fma_f32 v[82:83], v[76:77], s[30:31], v[78:79]
	s_mov_b32 s27, s14
	v_mov_b32_e32 v80, v82
	v_pk_add_f32 v[16:17], v[16:17], v[80:81]
	v_mov_b32_e32 v80, v67
	v_mov_b32_e32 v81, v65
	;; [unrolled: 1-line block ×4, first 2 shown]
	s_mov_b32 s15, s26
	v_pk_mul_f32 v[86:87], v[80:81], s[26:27]
	v_pk_fma_f32 v[14:15], v[20:21], s[0:1], v[14:15] neg_lo:[0,0,1] neg_hi:[0,0,1]
	v_pk_fma_f32 v[88:89], v[84:85], s[14:15], v[86:87] neg_lo:[1,0,0] neg_hi:[1,0,0]
	v_pk_fma_f32 v[90:91], v[84:85], s[14:15], v[86:87]
	v_mov_b32_e32 v15, v27
	v_mov_b32_e32 v88, v90
	v_pk_add_f32 v[88:89], v[16:17], v[88:89]
	v_pk_fma_f32 v[16:17], v[68:69], s[16:17], v[70:71] neg_lo:[0,0,1] neg_hi:[0,0,1]
	v_pk_add_f32 v[14:15], v[10:11], v[14:15]
	v_mov_b32_e32 v17, v75
	v_pk_add_f32 v[14:15], v[14:15], v[16:17]
	v_pk_fma_f32 v[16:17], v[76:77], s[30:31], v[78:79] neg_lo:[0,0,1] neg_hi:[0,0,1]
	s_mov_b32 s24, 0x3f0a6770
	v_mov_b32_e32 v17, v83
	v_pk_add_f32 v[14:15], v[14:15], v[16:17]
	v_pk_fma_f32 v[16:17], v[84:85], s[14:15], v[86:87] neg_lo:[0,0,1] neg_hi:[0,0,1]
	s_mov_b32 s13, s24
	v_mov_b32_e32 v17, v91
	s_mov_b32 s25, s12
	v_pk_mul_f32 v[26:27], v[46:47], s[12:13]
	v_pk_add_f32 v[14:15], v[14:15], v[16:17]
	v_pk_fma_f32 v[16:17], v[48:49], s[24:25], v[26:27] op_sel:[1,0,0] neg_lo:[1,0,0] neg_hi:[1,0,0]
	v_pk_fma_f32 v[70:71], v[50:51], s[24:25], v[26:27]
	s_mov_b32 s5, s14
	v_mov_b32_e32 v17, v71
	v_pk_add_f32 v[16:17], v[14:15], v[16:17]
	v_pk_fma_f32 v[14:15], v[50:51], s[24:25], v[26:27] neg_lo:[0,0,1] neg_hi:[0,0,1]
	v_pk_mul_f32 v[18:19], v[18:19], s[4:5]
	v_mov_b32_e32 v71, v15
	s_mov_b32 s15, s4
	v_pk_add_f32 v[14:15], v[88:89], v[70:71]
	v_pk_fma_f32 v[26:27], v[20:21], s[14:15], v[18:19] neg_lo:[1,0,0] neg_hi:[1,0,0]
	v_pk_fma_f32 v[70:71], v[20:21], s[14:15], v[18:19]
	v_pk_mul_f32 v[28:29], v[28:29], s[28:29]
	v_mov_b32_e32 v26, v70
	v_pk_fma_f32 v[74:75], v[68:69], s[30:31], v[28:29] neg_lo:[1,0,0] neg_hi:[1,0,0]
	v_pk_fma_f32 v[78:79], v[68:69], s[30:31], v[28:29]
	s_mov_b32 s28, 0x3f68dda4
	s_mov_b32 s29, s0
	v_pk_fma_f32 v[18:19], v[20:21], s[14:15], v[18:19] neg_lo:[0,0,1] neg_hi:[0,0,1]
	v_pk_add_f32 v[26:27], v[10:11], v[26:27]
	v_mov_b32_e32 v74, v78
	v_pk_mul_f32 v[72:73], v[72:73], s[28:29]
	s_mov_b32 s1, s28
	v_mov_b32_e32 v19, v71
	v_pk_fma_f32 v[20:21], v[68:69], s[30:31], v[28:29] neg_lo:[0,0,1] neg_hi:[0,0,1]
	v_pk_add_f32 v[26:27], v[26:27], v[74:75]
	v_pk_fma_f32 v[74:75], v[76:77], s[0:1], v[72:73] neg_lo:[1,0,0] neg_hi:[1,0,0]
	v_pk_fma_f32 v[82:83], v[76:77], s[0:1], v[72:73]
	v_mov_b32_e32 v21, v79
	v_pk_add_f32 v[18:19], v[10:11], v[18:19]
	v_mov_b32_e32 v74, v82
	s_mov_b32 s21, s12
	v_pk_add_f32 v[18:19], v[18:19], v[20:21]
	v_pk_fma_f32 v[20:21], v[76:77], s[0:1], v[72:73] neg_lo:[0,0,1] neg_hi:[0,0,1]
	v_pk_add_f32 v[26:27], v[26:27], v[74:75]
	v_pk_mul_f32 v[74:75], v[80:81], s[20:21]
	s_mov_b32 s13, s20
	v_mov_b32_e32 v21, v83
	v_pk_fma_f32 v[86:87], v[84:85], s[12:13], v[74:75]
	v_pk_add_f32 v[18:19], v[18:19], v[20:21]
	v_pk_fma_f32 v[20:21], v[84:85], s[12:13], v[74:75] neg_lo:[0,0,1] neg_hi:[0,0,1]
	v_pk_fma_f32 v[80:81], v[84:85], s[12:13], v[74:75] neg_lo:[1,0,0] neg_hi:[1,0,0]
	v_mov_b32_e32 v21, v87
	v_pk_add_f32 v[18:19], v[18:19], v[20:21]
	v_pk_mul_f32 v[20:21], v[46:47], s[16:17]
	v_mov_b32_e32 v80, v86
	v_pk_fma_f32 v[28:29], v[48:49], s[18:19], v[20:21] op_sel:[1,0,0] neg_lo:[1,0,0] neg_hi:[1,0,0]
	v_pk_fma_f32 v[68:69], v[50:51], s[18:19], v[20:21]
	v_pk_fma_f32 v[20:21], v[50:51], s[18:19], v[20:21] neg_lo:[0,0,1] neg_hi:[0,0,1]
	v_pk_add_f32 v[26:27], v[26:27], v[80:81]
	v_mov_b32_e32 v29, v69
	v_mov_b32_e32 v69, v21
	v_pk_add_f32 v[20:21], v[26:27], v[68:69]
	v_pk_mul_f32 v[26:27], v[54:55], s[18:19] op_sel_hi:[1,0]
	v_pk_mul_f32 v[70:71], v[58:59], s[26:27] op_sel_hi:[1,0]
	v_pk_fma_f32 v[68:69], v[52:53], s[16:17], v[26:27] op_sel:[0,0,1] op_sel_hi:[1,0,0] neg_lo:[0,0,1] neg_hi:[0,0,1]
	v_pk_fma_f32 v[26:27], v[52:53], s[16:17], v[26:27] op_sel:[0,0,1] op_sel_hi:[1,0,0]
	v_pk_add_f32 v[18:19], v[18:19], v[28:29]
	v_mov_b32_e32 v28, v68
	v_mov_b32_e32 v29, v27
	v_pk_fma_f32 v[72:73], v[56:57], s[14:15], v[70:71] op_sel:[0,0,1] op_sel_hi:[1,0,0] neg_lo:[0,0,1] neg_hi:[0,0,1]
	v_pk_fma_f32 v[70:71], v[56:57], s[14:15], v[70:71] op_sel:[0,0,1] op_sel_hi:[1,0,0]
	v_pk_add_f32 v[28:29], v[10:11], v[28:29]
	v_mov_b32_e32 v74, v72
	v_mov_b32_e32 v75, v71
	v_pk_add_f32 v[28:29], v[28:29], v[74:75]
	v_pk_mul_f32 v[74:75], v[62:63], s[20:21] op_sel_hi:[1,0]
	s_mov_b32 s20, s23
	v_pk_fma_f32 v[76:77], v[60:61], s[12:13], v[74:75] op_sel:[0,0,1] op_sel_hi:[1,0,0] neg_lo:[0,0,1] neg_hi:[0,0,1]
	v_pk_fma_f32 v[74:75], v[60:61], s[12:13], v[74:75] op_sel:[0,0,1] op_sel_hi:[1,0,0]
	v_mov_b32_e32 v78, v76
	v_mov_b32_e32 v79, v75
	v_pk_add_f32 v[28:29], v[28:29], v[78:79]
	v_pk_mul_f32 v[78:79], v[66:67], s[22:23] op_sel_hi:[1,0]
	v_mov_b32_e32 v27, v69
	v_pk_fma_f32 v[80:81], v[64:65], s[20:21], v[78:79] op_sel:[0,0,1] op_sel_hi:[1,0,0] neg_lo:[0,0,1] neg_hi:[0,0,1]
	v_pk_fma_f32 v[78:79], v[64:65], s[20:21], v[78:79] op_sel:[0,0,1] op_sel_hi:[1,0,0]
	v_mov_b32_e32 v82, v80
	v_mov_b32_e32 v83, v79
	v_pk_add_f32 v[28:29], v[28:29], v[82:83]
	v_pk_mul_f32 v[82:83], v[46:47], s[0:1]
	v_pk_mul_f32 v[54:55], v[54:55], s[22:23] op_sel_hi:[1,0]
	v_pk_fma_f32 v[84:85], v[48:49], s[28:29], v[82:83] op_sel:[1,0,0] neg_lo:[1,0,0] neg_hi:[1,0,0]
	v_pk_fma_f32 v[86:87], v[50:51], s[28:29], v[82:83]
	v_pk_fma_f32 v[68:69], v[50:51], s[28:29], v[82:83] neg_lo:[0,0,1] neg_hi:[0,0,1]
	v_mov_b32_e32 v85, v87
	v_mov_b32_e32 v87, v69
	v_pk_fma_f32 v[68:69], v[52:53], s[20:21], v[54:55] op_sel:[0,0,1] op_sel_hi:[1,0,0] neg_lo:[0,0,1] neg_hi:[0,0,1]
	v_pk_fma_f32 v[52:53], v[52:53], s[20:21], v[54:55] op_sel:[0,0,1] op_sel_hi:[1,0,0]
	v_pk_mul_f32 v[54:55], v[58:59], s[24:25] op_sel_hi:[1,0]
	v_mov_b32_e32 v71, v73
	v_pk_add_f32 v[26:27], v[10:11], v[26:27]
	v_pk_fma_f32 v[58:59], v[56:57], s[12:13], v[54:55] op_sel:[0,0,1] op_sel_hi:[1,0,0] neg_lo:[0,0,1] neg_hi:[0,0,1]
	v_pk_fma_f32 v[54:55], v[56:57], s[12:13], v[54:55] op_sel:[0,0,1] op_sel_hi:[1,0,0]
	v_mov_b32_e32 v56, v68
	v_mov_b32_e32 v57, v53
	v_pk_add_f32 v[26:27], v[26:27], v[70:71]
	v_pk_add_f32 v[56:57], v[10:11], v[56:57]
	v_mov_b32_e32 v70, v58
	v_mov_b32_e32 v71, v55
	v_pk_mul_f32 v[62:63], v[62:63], s[18:19] op_sel_hi:[1,0]
	v_pk_add_f32 v[56:57], v[56:57], v[70:71]
	v_pk_fma_f32 v[70:71], v[60:61], s[16:17], v[62:63] op_sel:[0,0,1] op_sel_hi:[1,0,0] neg_lo:[0,0,1] neg_hi:[0,0,1]
	v_pk_fma_f32 v[60:61], v[60:61], s[16:17], v[62:63] op_sel:[0,0,1] op_sel_hi:[1,0,0]
	v_mov_b32_e32 v62, v70
	v_mov_b32_e32 v63, v61
	v_pk_add_f32 v[56:57], v[56:57], v[62:63]
	v_pk_mul_f32 v[62:63], v[66:67], s[28:29] op_sel_hi:[1,0]
	v_mov_b32_e32 v53, v69
	v_pk_fma_f32 v[66:67], v[64:65], s[0:1], v[62:63] op_sel:[0,0,1] op_sel_hi:[1,0,0] neg_lo:[0,0,1] neg_hi:[0,0,1]
	v_pk_fma_f32 v[62:63], v[64:65], s[0:1], v[62:63] op_sel:[0,0,1] op_sel_hi:[1,0,0]
	v_mov_b32_e32 v64, v66
	v_mov_b32_e32 v65, v63
	;; [unrolled: 1-line block ×3, first 2 shown]
	v_pk_add_f32 v[52:53], v[10:11], v[52:53]
	v_mov_b32_e32 v75, v77
	v_pk_add_f32 v[56:57], v[56:57], v[64:65]
	v_pk_mul_f32 v[64:65], v[46:47], s[14:15]
	v_pk_add_f32 v[52:53], v[52:53], v[54:55]
	v_mov_b32_e32 v61, v71
	v_and_b32_e32 v1, 1, v1
	v_pk_add_f32 v[26:27], v[26:27], v[74:75]
	v_mov_b32_e32 v79, v81
	v_pk_fma_f32 v[48:49], v[48:49], s[4:5], v[64:65] op_sel:[1,0,0] neg_lo:[1,0,0] neg_hi:[1,0,0]
	v_pk_fma_f32 v[72:73], v[50:51], s[4:5], v[64:65]
	v_mov_b32_e32 v7, 0x302
	v_cmp_eq_u32_e64 s[0:1], 1, v1
	v_pk_add_f32 v[52:53], v[52:53], v[60:61]
	v_mov_b32_e32 v63, v67
	v_pk_fma_f32 v[50:51], v[50:51], s[4:5], v[64:65] neg_lo:[0,0,1] neg_hi:[0,0,1]
	v_pk_add_f32 v[26:27], v[26:27], v[78:79]
	v_mov_b32_e32 v49, v73
	v_cndmask_b32_e64 v1, 0, v7, s[0:1]
	v_pk_add_f32 v[52:53], v[52:53], v[62:63]
	v_mov_b32_e32 v73, v51
	s_movk_i32 s0, 0x46
	v_pk_add_f32 v[28:29], v[28:29], v[84:85]
	v_pk_add_f32 v[26:27], v[26:27], v[86:87]
	;; [unrolled: 1-line block ×4, first 2 shown]
	v_cmp_gt_u32_e64 s[0:1], s0, v6
	v_lshlrev_b32_e32 v1, 3, v1
	s_and_saveexec_b64 s[4:5], s[0:1]
	s_cbranch_execz .LBB0_15
; %bb.14:
	v_mov_b32_e32 v25, v23
	v_pk_add_f32 v[10:11], v[10:11], v[24:25]
	v_mov_b32_e32 v33, v31
	v_pk_mul_f32 v[46:47], v[46:47], s[10:11]
	v_pk_add_f32 v[10:11], v[10:11], v[32:33]
	v_mov_b32_e32 v37, v35
	v_pk_add_f32 v[10:11], v[10:11], v[36:37]
	v_mov_b32_e32 v41, v39
	v_pk_add_f32 v[22:23], v[42:43], v[46:47] neg_lo:[0,1] neg_hi:[0,1]
	v_mul_u32_u24_e32 v7, 0x58, v6
	v_pk_add_f32 v[10:11], v[10:11], v[40:41]
	v_mov_b32_e32 v45, v23
	v_add3_u32 v7, 0, v7, v1
	v_pk_add_f32 v[10:11], v[10:11], v[44:45]
	ds_write2_b64 v7, v[8:9], v[12:13] offset1:1
	ds_write2_b64 v7, v[16:17], v[18:19] offset0:2 offset1:3
	ds_write2_b64 v7, v[28:29], v[48:49] offset0:4 offset1:5
	ds_write2_b64 v7, v[50:51], v[26:27] offset0:6 offset1:7
	ds_write2_b64 v7, v[20:21], v[14:15] offset0:8 offset1:9
	ds_write_b64 v7, v[10:11] offset:80
.LBB0_15:
	s_or_b64 exec, exec, s[4:5]
	s_movk_i32 s0, 0x4d
	v_cmp_gt_u32_e64 s[0:1], s0, v6
	v_lshlrev_b32_e32 v7, 3, v6
	s_waitcnt lgkmcnt(0)
	s_barrier
	s_and_saveexec_b64 s[4:5], s[0:1]
	s_cbranch_execz .LBB0_17
; %bb.16:
	v_add3_u32 v14, 0, v7, v1
	v_add_u32_e32 v9, 0x400, v14
	ds_read2_b64 v[16:19], v9 offset0:103 offset1:180
	v_add_u32_e32 v9, 0x1000, v14
	ds_read2_b64 v[10:13], v14 offset0:77 offset1:154
	ds_read2_b64 v[20:23], v9 offset0:27 offset1:104
	v_add3_u32 v8, 0, v1, v7
	v_add_u32_e32 v9, 0x800, v14
	ds_read2_b64 v[28:31], v9 offset0:129 offset1:206
	ds_read_b64 v[8:9], v8
	ds_read_b64 v[14:15], v14 offset:5544
	s_waitcnt lgkmcnt(3)
	v_mov_b32_e32 v27, v21
	v_mov_b32_e32 v26, v20
	s_waitcnt lgkmcnt(2)
	v_mov_b32_e32 v51, v31
	v_mov_b32_e32 v50, v30
	;; [unrolled: 1-line block ×12, first 2 shown]
	v_mov_b64_e32 v[20:21], v[22:23]
.LBB0_17:
	s_or_b64 exec, exec, s[4:5]
	s_waitcnt lgkmcnt(0)
	s_barrier
	s_and_saveexec_b64 s[4:5], s[0:1]
	s_cbranch_execz .LBB0_19
; %bb.18:
	s_movk_i32 s0, 0x75
	v_mul_lo_u16_sdwa v10, v6, s0 dst_sel:DWORD dst_unused:UNUSED_PAD src0_sel:BYTE_0 src1_sel:DWORD
	v_sub_u16_sdwa v11, v6, v10 dst_sel:DWORD dst_unused:UNUSED_PAD src0_sel:DWORD src1_sel:BYTE_1
	v_lshrrev_b16_e32 v11, 1, v11
	v_and_b32_e32 v11, 0x7f, v11
	v_add_u16_sdwa v10, v11, v10 dst_sel:DWORD dst_unused:UNUSED_PAD src0_sel:DWORD src1_sel:BYTE_1
	v_lshrrev_b16_e32 v43, 3, v10
	v_mul_lo_u16_e32 v10, 11, v43
	v_sub_u16_e32 v45, v6, v10
	v_mov_b32_e32 v10, 9
	v_mul_u32_u24_sdwa v10, v45, v10 dst_sel:DWORD dst_unused:UNUSED_PAD src0_sel:BYTE_0 src1_sel:DWORD
	v_lshlrev_b32_e32 v42, 3, v10
	global_load_dwordx4 v[22:25], v42, s[8:9]
	global_load_dwordx4 v[30:33], v42, s[8:9] offset:16
	global_load_dwordx4 v[34:37], v42, s[8:9] offset:48
	;; [unrolled: 1-line block ×3, first 2 shown]
	global_load_dwordx2 v[10:11], v42, s[8:9] offset:64
	v_mov_b32_e32 v42, v17
	v_mov_b32_e32 v44, v29
	;; [unrolled: 1-line block ×5, first 2 shown]
	s_movk_i32 s1, 0x370
	v_mov_b32_e32 v13, 3
	v_mov_b32_e32 v54, v49
	v_mad_u32_u24 v17, v43, s1, 0
	v_lshlrev_b32_sdwa v13, v13, v45 dst_sel:DWORD dst_unused:UNUSED_PAD src0_sel:DWORD src1_sel:BYTE_0
	v_add3_u32 v66, v17, v13, v1
	v_mov_b32_e32 v46, v51
	s_mov_b32 s10, 0x3f737871
	s_mov_b32 s0, 0x3f167918
	;; [unrolled: 1-line block ×6, first 2 shown]
	s_waitcnt vmcnt(4)
	v_pk_mul_f32 v[42:43], v[42:43], v[24:25] op_sel_hi:[0,1]
	s_waitcnt vmcnt(3)
	v_pk_mul_f32 v[44:45], v[44:45], v[32:33] op_sel_hi:[0,1]
	s_waitcnt vmcnt(2)
	v_pk_mul_f32 v[60:61], v[20:21], v[36:37] op_sel:[1,0]
	v_pk_mul_f32 v[52:53], v[52:53], v[30:31] op_sel_hi:[0,1]
	s_waitcnt vmcnt(0)
	v_pk_mul_f32 v[62:63], v[14:15], v[10:11] op_sel:[1,0]
	v_pk_mul_f32 v[56:57], v[56:57], v[34:35] op_sel_hi:[0,1]
	v_pk_mul_f32 v[58:59], v[58:59], v[22:23] op_sel_hi:[0,1]
	;; [unrolled: 1-line block ×3, first 2 shown]
	v_pk_fma_f32 v[64:65], v[28:29], v[32:33], v[44:45] op_sel:[0,0,1] op_sel_hi:[1,1,0] neg_lo:[0,0,1] neg_hi:[0,0,1]
	v_pk_fma_f32 v[28:29], v[28:29], v[32:33], v[44:45] op_sel:[0,0,1] op_sel_hi:[0,1,0]
	v_pk_fma_f32 v[32:33], v[16:17], v[24:25], v[42:43] op_sel:[0,0,1] op_sel_hi:[1,1,0] neg_lo:[0,0,1] neg_hi:[0,0,1]
	v_pk_fma_f32 v[16:17], v[16:17], v[24:25], v[42:43] op_sel:[0,0,1] op_sel_hi:[0,1,0]
	;; [unrolled: 2-line block ×8, first 2 shown]
	v_mov_b32_e32 v37, v19
	v_mov_b32_e32 v35, v13
	v_pk_mul_f32 v[46:47], v[46:47], v[40:41] op_sel_hi:[0,1]
	v_mov_b32_e32 v31, v39
	v_pk_add_f32 v[12:13], v[34:35], v[36:37]
	v_pk_fma_f32 v[24:25], v[50:51], v[40:41], v[46:47] op_sel:[0,0,1] op_sel_hi:[1,1,0] neg_lo:[0,0,1] neg_hi:[0,0,1]
	v_pk_fma_f32 v[40:41], v[50:51], v[40:41], v[46:47] op_sel:[0,0,1] op_sel_hi:[0,1,0]
	v_mov_b32_e32 v45, v11
	v_mov_b32_e32 v15, v27
	v_pk_add_f32 v[12:13], v[12:13], v[30:31]
	v_mov_b32_e32 v33, v17
	v_mov_b32_e32 v25, v41
	v_pk_add_f32 v[38:39], v[30:31], v[14:15]
	v_pk_add_f32 v[40:41], v[30:31], v[14:15] neg_lo:[0,1] neg_hi:[0,1]
	v_pk_add_f32 v[46:47], v[36:37], v[30:31] neg_lo:[0,1] neg_hi:[0,1]
	v_pk_add_f32 v[48:49], v[44:45], v[14:15] neg_lo:[0,1] neg_hi:[0,1]
	v_pk_add_f32 v[12:13], v[12:13], v[14:15]
	v_pk_add_f32 v[30:31], v[30:31], v[36:37] neg_lo:[0,1] neg_hi:[0,1]
	v_pk_add_f32 v[14:15], v[14:15], v[44:45] neg_lo:[0,1] neg_hi:[0,1]
	v_mov_b32_e32 v65, v29
	v_mov_b32_e32 v43, v21
	v_pk_add_f32 v[10:11], v[8:9], v[32:33]
	v_pk_add_f32 v[14:15], v[30:31], v[14:15]
	;; [unrolled: 1-line block ×4, first 2 shown]
	v_pk_add_f32 v[18:19], v[32:33], v[42:43] neg_lo:[0,1] neg_hi:[0,1]
	v_pk_add_f32 v[22:23], v[32:33], v[64:65] neg_lo:[0,1] neg_hi:[0,1]
	v_pk_add_f32 v[10:11], v[10:11], v[64:65]
	v_pk_fma_f32 v[38:39], v[38:39], 0.5, v[34:35] op_sel_hi:[1,0,1] neg_lo:[1,0,0] neg_hi:[1,0,0]
	v_pk_fma_f32 v[30:31], v[30:31], 0.5, v[34:35] op_sel_hi:[1,0,1] neg_lo:[1,0,0] neg_hi:[1,0,0]
	v_pk_add_f32 v[34:35], v[64:65], v[32:33] neg_lo:[0,1] neg_hi:[0,1]
	v_pk_add_f32 v[32:33], v[32:33], v[42:43]
	v_pk_add_f32 v[20:21], v[64:65], v[24:25] neg_lo:[0,1] neg_hi:[0,1]
	v_pk_add_f32 v[26:27], v[42:43], v[24:25] neg_lo:[0,1] neg_hi:[0,1]
	;; [unrolled: 1-line block ×3, first 2 shown]
	v_pk_fma_f32 v[16:17], v[16:17], 0.5, v[8:9] op_sel_hi:[1,0,1] neg_lo:[1,0,0] neg_hi:[1,0,0]
	v_pk_add_f32 v[10:11], v[10:11], v[24:25]
	v_pk_add_f32 v[24:25], v[24:25], v[42:43] neg_lo:[0,1] neg_hi:[0,1]
	v_pk_fma_f32 v[8:9], v[32:33], 0.5, v[8:9] op_sel_hi:[1,0,1] neg_lo:[1,0,0] neg_hi:[1,0,0]
	v_pk_mul_f32 v[32:33], v[40:41], s[10:11] op_sel_hi:[1,0]
	v_pk_add_f32 v[22:23], v[22:23], v[26:27]
	v_pk_mul_f32 v[26:27], v[28:29], s[10:11] op_sel_hi:[1,0]
	v_pk_add_f32 v[24:25], v[34:35], v[24:25]
	v_pk_mul_f32 v[28:29], v[28:29], s[0:1] op_sel_hi:[1,0]
	v_pk_add_f32 v[34:35], v[30:31], v[32:33] op_sel:[0,1] op_sel_hi:[1,0] neg_lo:[0,1] neg_hi:[0,1]
	v_pk_add_f32 v[30:31], v[30:31], v[32:33] op_sel:[0,1] op_sel_hi:[1,0]
	v_pk_mul_f32 v[52:53], v[20:21], s[0:1] op_sel_hi:[1,0]
	v_pk_add_f32 v[30:31], v[30:31], v[28:29] op_sel:[0,1] op_sel_hi:[1,0] neg_lo:[0,1] neg_hi:[0,1]
	v_pk_add_f32 v[28:29], v[34:35], v[28:29] op_sel:[0,1] op_sel_hi:[1,0]
	v_pk_mul_f32 v[20:21], v[20:21], s[10:11] op_sel_hi:[1,0]
	v_mov_b32_e32 v32, v28
	v_mov_b32_e32 v33, v31
	v_pk_mul_f32 v[50:51], v[18:19], s[10:11] op_sel_hi:[1,0]
	v_pk_mul_f32 v[18:19], v[18:19], s[0:1] op_sel_hi:[1,0]
	v_pk_fma_f32 v[32:33], v[14:15], s[12:13], v[32:33] op_sel_hi:[1,0,1]
	v_pk_add_f32 v[34:35], v[8:9], v[20:21] op_sel:[0,1] op_sel_hi:[1,0] neg_lo:[0,1] neg_hi:[0,1]
	v_pk_add_f32 v[8:9], v[8:9], v[20:21] op_sel:[0,1] op_sel_hi:[1,0]
	v_mov_b32_e32 v31, v29
	v_pk_add_f32 v[8:9], v[8:9], v[18:19] op_sel:[0,1] op_sel_hi:[1,0] neg_lo:[0,1] neg_hi:[0,1]
	v_pk_add_f32 v[18:19], v[34:35], v[18:19] op_sel:[0,1] op_sel_hi:[1,0]
	v_pk_mul_f32 v[34:35], v[32:33], s[10:11] op_sel_hi:[1,0]
	v_pk_fma_f32 v[14:15], v[14:15], s[12:13], v[30:31] op_sel_hi:[1,0,1]
	v_pk_mul_f32 v[54:55], v[40:41], s[0:1] op_sel_hi:[1,0]
	v_pk_add_f32 v[46:47], v[46:47], v[48:49]
	v_pk_add_f32 v[48:49], v[38:39], v[26:27] op_sel:[0,1] op_sel_hi:[1,0]
	v_pk_add_f32 v[26:27], v[38:39], v[26:27] op_sel:[0,1] op_sel_hi:[1,0] neg_lo:[0,1] neg_hi:[0,1]
	v_mov_b32_e32 v20, v18
	v_mov_b32_e32 v21, v9
	v_pk_fma_f32 v[36:37], v[32:33], s[12:13], v[34:35] op_sel:[0,0,1] op_sel_hi:[1,0,0]
	v_pk_fma_f32 v[32:33], v[32:33], s[12:13], v[34:35] op_sel:[0,0,1] op_sel_hi:[1,0,0] neg_lo:[0,0,1] neg_hi:[0,0,1]
	v_mov_b32_e32 v9, v19
	v_pk_mul_f32 v[18:19], v[14:15], s[12:13] op_sel_hi:[1,0]
	v_pk_add_f32 v[26:27], v[26:27], v[54:55] op_sel:[0,1] op_sel_hi:[1,0] neg_lo:[0,1] neg_hi:[0,1]
	v_pk_add_f32 v[38:39], v[48:49], v[54:55] op_sel:[0,1] op_sel_hi:[1,0]
	v_pk_add_f32 v[56:57], v[16:17], v[50:51] op_sel:[0,1] op_sel_hi:[1,0]
	v_pk_add_f32 v[16:17], v[16:17], v[50:51] op_sel:[0,1] op_sel_hi:[1,0] neg_lo:[0,1] neg_hi:[0,1]
	v_pk_fma_f32 v[20:21], v[24:25], s[12:13], v[20:21] op_sel_hi:[1,0,1]
	v_mov_b32_e32 v37, v33
	v_pk_fma_f32 v[8:9], v[24:25], s[12:13], v[8:9] op_sel_hi:[1,0,1]
	v_pk_fma_f32 v[14:15], v[14:15], s[16:17], v[18:19] op_sel:[0,0,1] op_sel_hi:[1,1,0] neg_lo:[0,0,1] neg_hi:[0,0,1]
	v_mov_b32_e32 v54, v38
	v_mov_b32_e32 v55, v27
	v_pk_add_f32 v[16:17], v[16:17], v[52:53] op_sel:[0,1] op_sel_hi:[1,0] neg_lo:[0,1] neg_hi:[0,1]
	v_pk_add_f32 v[50:51], v[56:57], v[52:53] op_sel:[0,1] op_sel_hi:[1,0]
	v_pk_add_f32 v[32:33], v[20:21], v[36:37]
	v_pk_add_f32 v[18:19], v[8:9], v[14:15] op_sel:[0,1] op_sel_hi:[1,0]
	v_mov_b32_e32 v27, v39
	v_pk_fma_f32 v[54:55], v[46:47], s[12:13], v[54:55] op_sel_hi:[1,0,1]
	v_mov_b32_e32 v52, v50
	v_mov_b32_e32 v53, v17
	ds_write2_b64 v66, v[32:33], v[18:19] offset0:22 offset1:33
	v_pk_fma_f32 v[18:19], v[46:47], s[12:13], v[26:27] op_sel_hi:[1,0,1]
	v_mov_b32_e32 v17, v51
	v_pk_fma_f32 v[52:53], v[22:23], s[12:13], v[52:53] op_sel_hi:[1,0,1]
	v_pk_mul_f32 v[56:57], v[54:55], s[0:1] op_sel_hi:[1,0]
	v_pk_fma_f32 v[16:17], v[22:23], s[12:13], v[16:17] op_sel_hi:[1,0,1]
	s_mov_b32 s10, 0xbf167918
	s_mov_b32 s11, s0
	v_pk_mul_f32 v[22:23], v[18:19], s[14:15] op_sel_hi:[1,0]
	v_pk_add_f32 v[10:11], v[10:11], v[42:43]
	v_pk_add_f32 v[12:13], v[12:13], v[44:45]
	v_pk_fma_f32 v[58:59], v[54:55], s[14:15], v[56:57] op_sel:[0,0,1] op_sel_hi:[1,0,0]
	v_pk_fma_f32 v[54:55], v[54:55], s[14:15], v[56:57] op_sel:[0,0,1] op_sel_hi:[1,0,0] neg_lo:[0,0,1] neg_hi:[0,0,1]
	v_pk_fma_f32 v[18:19], v[18:19], s[10:11], v[22:23] op_sel:[0,0,1] op_sel_hi:[1,1,0] neg_lo:[0,0,1] neg_hi:[0,0,1]
	v_pk_add_f32 v[48:49], v[10:11], v[12:13]
	v_mov_b32_e32 v59, v55
	v_pk_add_f32 v[22:23], v[16:17], v[18:19] op_sel:[0,1] op_sel_hi:[1,0]
	v_pk_add_f32 v[10:11], v[10:11], v[12:13] neg_lo:[0,1] neg_hi:[0,1]
	ds_write2_b64 v66, v[22:23], v[10:11] offset0:44 offset1:55
	v_pk_add_f32 v[10:11], v[52:53], v[58:59] neg_lo:[0,1] neg_hi:[0,1]
	v_pk_add_f32 v[12:13], v[20:21], v[36:37] neg_lo:[0,1] neg_hi:[0,1]
	v_pk_add_f32 v[54:55], v[52:53], v[58:59]
	ds_write2_b64 v66, v[10:11], v[12:13] offset0:66 offset1:77
	v_pk_add_f32 v[8:9], v[8:9], v[14:15] op_sel:[0,1] op_sel_hi:[1,0] neg_lo:[0,1] neg_hi:[0,1]
	v_pk_add_f32 v[10:11], v[16:17], v[18:19] op_sel:[0,1] op_sel_hi:[1,0] neg_lo:[0,1] neg_hi:[0,1]
	ds_write2_b64 v66, v[48:49], v[54:55] offset1:11
	ds_write2_b64 v66, v[8:9], v[10:11] offset0:88 offset1:99
.LBB0_19:
	s_or_b64 exec, exec, s[4:5]
	s_waitcnt lgkmcnt(0)
	s_barrier
	s_and_saveexec_b64 s[0:1], vcc
	s_cbranch_execz .LBB0_21
; %bb.20:
	v_mul_u32_u24_e32 v6, 6, v6
	v_lshlrev_b32_e32 v6, 3, v6
	global_load_dwordx4 v[8:11], v6, s[8:9] offset:792
	global_load_dwordx4 v[12:15], v6, s[8:9] offset:824
	;; [unrolled: 1-line block ×3, first 2 shown]
	v_add3_u32 v20, 0, v7, v1
	v_mul_lo_u32 v6, s3, v4
	v_mul_lo_u32 v5, s2, v5
	v_mad_u64_u32 v[28:29], s[0:1], s2, v4, 0
	v_add3_u32 v21, 0, v1, v7
	v_add_u32_e32 v22, 0x1000, v20
	v_add_u32_e32 v24, 0x800, v20
	v_add3_u32 v29, v29, v5, v6
	ds_read2_b64 v[4:7], v20 offset0:110 offset1:220
	ds_read_b64 v[30:31], v21
	ds_read2_b64 v[20:23], v22 offset0:38 offset1:148
	ds_read2_b64 v[24:27], v24 offset0:74 offset1:184
	v_lshl_add_u64 v[28:29], v[28:29], 3, s[6:7]
	v_mov_b32_e32 v1, 0
	v_lshl_add_u64 v[2:3], v[2:3], 3, v[28:29]
	s_waitcnt lgkmcnt(3)
	v_mov_b32_e32 v28, v7
	s_waitcnt lgkmcnt(0)
	v_mov_b32_e32 v29, v27
	v_mov_b32_e32 v34, v21
	;; [unrolled: 1-line block ×3, first 2 shown]
	v_lshl_add_u64 v[0:1], v[0:1], 3, v[2:3]
	v_mov_b32_e32 v2, v6
	v_mov_b32_e32 v3, v26
	;; [unrolled: 1-line block ×4, first 2 shown]
	s_mov_b32 s2, 0xbf08b237
	s_mov_b32 s3, 0x3eae86e6
	;; [unrolled: 1-line block ×5, first 2 shown]
	s_waitcnt vmcnt(2)
	v_mul_f32_e32 v37, v9, v5
	s_waitcnt vmcnt(1)
	v_mul_f32_e32 v39, v15, v23
	v_mul_f32_e32 v36, v14, v23
	;; [unrolled: 1-line block ×5, first 2 shown]
	s_waitcnt vmcnt(0)
	v_mul_f32_e32 v7, v16, v25
	v_mov_b32_e32 v40, v13
	v_mov_b32_e32 v42, v13
	;; [unrolled: 1-line block ×7, first 2 shown]
	v_mul_f32_e32 v5, v17, v24
	v_mov_b32_e32 v45, v18
	v_fma_f32 v24, v8, v4, -v37
	v_fmac_f32_e32 v38, v9, v4
	v_fma_f32 v4, v10, v6, -v23
	v_pk_mul_f32 v[8:9], v[12:13], v[34:35]
	v_pk_mul_f32 v[10:11], v[10:11], v[28:29]
	v_mul_f32_e32 v25, v19, v26
	v_mul_f32_e32 v27, v18, v27
	v_fma_f32 v26, v14, v22, -v39
	v_fmac_f32_e32 v36, v15, v22
	v_fma_f32 v6, v12, v20, -v21
	v_pk_fma_f32 v[14:15], v[40:41], v[32:33], v[8:9]
	v_pk_fma_f32 v[8:9], v[42:43], v[32:33], v[8:9] neg_lo:[0,0,1] neg_hi:[0,0,1]
	v_pk_fma_f32 v[16:17], v[16:17], v[2:3], v[10:11]
	v_pk_fma_f32 v[2:3], v[44:45], v[2:3], v[10:11] neg_lo:[0,0,1] neg_hi:[0,0,1]
	v_sub_f32_e32 v37, v4, v6
	v_pk_add_f32 v[10:11], v[24:25], v[26:27]
	v_pk_add_f32 v[4:5], v[4:5], v[6:7]
	v_mov_b32_e32 v15, v9
	v_mov_b32_e32 v17, v3
	;; [unrolled: 1-line block ×7, first 2 shown]
	v_pk_add_f32 v[2:3], v[16:17], v[14:15]
	v_pk_add_f32 v[14:15], v[16:17], v[14:15] neg_lo:[0,1] neg_hi:[0,1]
	v_pk_add_f32 v[6:7], v[6:7], v[18:19] neg_lo:[0,1] neg_hi:[0,1]
	v_mov_b32_e32 v39, v15
	v_pk_add_f32 v[16:17], v[14:15], v[36:37]
	v_pk_add_f32 v[22:23], v[6:7], v[14:15]
	v_pk_add_f32 v[24:25], v[38:39], v[36:37] neg_lo:[0,1] neg_hi:[0,1]
	v_mov_b32_e32 v23, v7
	v_mov_b32_e32 v25, v17
	v_add_f32_e32 v13, v38, v36
	v_mov_b32_e32 v36, v6
	v_pk_add_f32 v[16:17], v[22:23], v[24:25]
	v_mov_b32_e32 v25, v15
	v_mov_b32_e32 v8, v9
	;; [unrolled: 1-line block ×3, first 2 shown]
	v_pk_add_f32 v[20:21], v[10:11], v[4:5]
	v_pk_add_f32 v[22:23], v[24:25], v[36:37] neg_lo:[0,1] neg_hi:[0,1]
	v_pk_add_f32 v[8:9], v[12:13], v[8:9]
	v_pk_mul_f32 v[22:23], v[22:23], s[4:5]
	v_pk_add_f32 v[28:29], v[20:21], v[8:9]
	v_mov_b32_e32 v11, v21
	v_mov_b32_e32 v9, v2
	s_mov_b32 s4, 0x3f4a47b2
	v_pk_add_f32 v[32:33], v[10:11], v[8:9] neg_lo:[0,1] neg_hi:[0,1]
	s_mov_b32 s5, 0x3d64c772
	v_mov_b32_e32 v9, v13
	v_mov_b32_e32 v5, v21
	v_pk_add_f32 v[18:19], v[6:7], v[14:15] neg_lo:[0,1] neg_hi:[0,1]
	v_pk_add_f32 v[8:9], v[8:9], v[4:5] neg_lo:[0,1] neg_hi:[0,1]
	s_mov_b32 s6, s5
	s_mov_b32 s7, s4
	v_pk_mul_f32 v[26:27], v[18:19], s[2:3]
	v_pk_add_f32 v[30:31], v[28:29], v[30:31]
	v_pk_mul_f32 v[32:33], v[32:33], s[4:5]
	v_pk_mul_f32 v[20:21], v[8:9], s[6:7]
	s_mov_b32 s4, 0xbf955555
	v_mov_b32_e32 v15, v37
	v_mov_b32_e32 v25, v7
	;; [unrolled: 1-line block ×4, first 2 shown]
	v_pk_fma_f32 v[28:29], v[28:29], s[4:5], v[30:31] op_sel_hi:[1,0,1]
	v_pk_fma_f32 v[18:19], v[18:19], s[2:3], v[22:23]
	v_pk_add_f32 v[6:7], v[14:15], v[24:25] neg_lo:[0,1] neg_hi:[0,1]
	s_mov_b32 s2, 0x3f5ff5aa
	v_mov_b32_e32 v14, v32
	v_mov_b32_e32 v15, v21
	v_pk_add_f32 v[2:3], v[4:5], v[10:11] neg_lo:[0,1] neg_hi:[0,1]
	s_mov_b32 s4, 0x3f3bfb3b
	v_mov_b32_e32 v10, v22
	v_mov_b32_e32 v11, v27
	v_pk_fma_f32 v[4:5], v[2:3], s[4:5], v[14:15] op_sel_hi:[1,0,1] neg_lo:[1,0,1] neg_hi:[1,0,1]
	v_pk_fma_f32 v[10:11], v[6:7], s[2:3], v[10:11] op_sel_hi:[1,0,1] neg_lo:[1,0,1] neg_hi:[1,0,1]
	v_pk_add_f32 v[4:5], v[4:5], v[28:29]
	v_pk_fma_f32 v[10:11], v[16:17], s[0:1], v[10:11] op_sel_hi:[1,0,1]
	v_mov_b32_e32 v21, v33
	v_mov_b32_e32 v27, v23
	v_pk_fma_f32 v[8:9], v[8:9], s[6:7], v[32:33]
	v_pk_add_f32 v[12:13], v[4:5], v[10:11]
	v_pk_add_f32 v[4:5], v[4:5], v[10:11] neg_lo:[0,1] neg_hi:[0,1]
	v_pk_fma_f32 v[2:3], v[2:3], s[4:5], v[20:21] op_sel_hi:[1,0,1] neg_lo:[0,0,1] neg_hi:[0,0,1]
	v_pk_fma_f32 v[6:7], v[6:7], s[2:3], v[26:27] op_sel_hi:[1,0,1] neg_lo:[0,0,1] neg_hi:[0,0,1]
	v_pk_add_f32 v[8:9], v[8:9], v[28:29]
	v_pk_fma_f32 v[18:19], v[16:17], s[0:1], v[18:19] op_sel_hi:[1,0,1]
	v_mov_b32_e32 v10, v12
	v_mov_b32_e32 v11, v5
	v_pk_add_f32 v[2:3], v[2:3], v[28:29]
	v_pk_fma_f32 v[6:7], v[16:17], s[0:1], v[6:7] op_sel_hi:[1,0,1]
	v_pk_add_f32 v[34:35], v[8:9], v[18:19]
	v_pk_add_f32 v[8:9], v[8:9], v[18:19] neg_lo:[0,1] neg_hi:[0,1]
	global_store_dwordx2 v[0:1], v[10:11], off offset:1760
	v_pk_add_f32 v[10:11], v[2:3], v[6:7] neg_lo:[0,1] neg_hi:[0,1]
	v_pk_add_f32 v[2:3], v[2:3], v[6:7]
	v_mov_b32_e32 v18, v34
	v_mov_b32_e32 v19, v9
	v_mov_b32_e32 v6, v10
	v_mov_b32_e32 v7, v3
	v_mov_b32_e32 v3, v11
	global_store_dwordx2 v[0:1], v[30:31], off
	global_store_dwordx2 v[0:1], v[18:19], off offset:880
	global_store_dwordx2 v[0:1], v[6:7], off offset:2640
	;; [unrolled: 1-line block ×3, first 2 shown]
	v_add_co_u32_e32 v0, vcc, 0x1000, v0
	v_mov_b32_e32 v5, v13
	s_nop 0
	v_addc_co_u32_e32 v1, vcc, 0, v1, vcc
	v_mov_b32_e32 v9, v35
	global_store_dwordx2 v[0:1], v[4:5], off offset:304
	global_store_dwordx2 v[0:1], v[8:9], off offset:1184
.LBB0_21:
	s_endpgm
	.section	.rodata,"a",@progbits
	.p2align	6, 0x0
	.amdhsa_kernel fft_rtc_fwd_len770_factors_11_10_7_wgs_220_tpt_110_sp_op_CI_CI_unitstride_sbrr_dirReg
		.amdhsa_group_segment_fixed_size 0
		.amdhsa_private_segment_fixed_size 0
		.amdhsa_kernarg_size 104
		.amdhsa_user_sgpr_count 2
		.amdhsa_user_sgpr_dispatch_ptr 0
		.amdhsa_user_sgpr_queue_ptr 0
		.amdhsa_user_sgpr_kernarg_segment_ptr 1
		.amdhsa_user_sgpr_dispatch_id 0
		.amdhsa_user_sgpr_kernarg_preload_length 0
		.amdhsa_user_sgpr_kernarg_preload_offset 0
		.amdhsa_user_sgpr_private_segment_size 0
		.amdhsa_uses_dynamic_stack 0
		.amdhsa_enable_private_segment 0
		.amdhsa_system_sgpr_workgroup_id_x 1
		.amdhsa_system_sgpr_workgroup_id_y 0
		.amdhsa_system_sgpr_workgroup_id_z 0
		.amdhsa_system_sgpr_workgroup_info 0
		.amdhsa_system_vgpr_workitem_id 0
		.amdhsa_next_free_vgpr 92
		.amdhsa_next_free_sgpr 32
		.amdhsa_accum_offset 92
		.amdhsa_reserve_vcc 1
		.amdhsa_float_round_mode_32 0
		.amdhsa_float_round_mode_16_64 0
		.amdhsa_float_denorm_mode_32 3
		.amdhsa_float_denorm_mode_16_64 3
		.amdhsa_dx10_clamp 1
		.amdhsa_ieee_mode 1
		.amdhsa_fp16_overflow 0
		.amdhsa_tg_split 0
		.amdhsa_exception_fp_ieee_invalid_op 0
		.amdhsa_exception_fp_denorm_src 0
		.amdhsa_exception_fp_ieee_div_zero 0
		.amdhsa_exception_fp_ieee_overflow 0
		.amdhsa_exception_fp_ieee_underflow 0
		.amdhsa_exception_fp_ieee_inexact 0
		.amdhsa_exception_int_div_zero 0
	.end_amdhsa_kernel
	.text
.Lfunc_end0:
	.size	fft_rtc_fwd_len770_factors_11_10_7_wgs_220_tpt_110_sp_op_CI_CI_unitstride_sbrr_dirReg, .Lfunc_end0-fft_rtc_fwd_len770_factors_11_10_7_wgs_220_tpt_110_sp_op_CI_CI_unitstride_sbrr_dirReg
                                        ; -- End function
	.section	.AMDGPU.csdata,"",@progbits
; Kernel info:
; codeLenInByte = 5892
; NumSgprs: 38
; NumVgprs: 92
; NumAgprs: 0
; TotalNumVgprs: 92
; ScratchSize: 0
; MemoryBound: 0
; FloatMode: 240
; IeeeMode: 1
; LDSByteSize: 0 bytes/workgroup (compile time only)
; SGPRBlocks: 4
; VGPRBlocks: 11
; NumSGPRsForWavesPerEU: 38
; NumVGPRsForWavesPerEU: 92
; AccumOffset: 92
; Occupancy: 5
; WaveLimiterHint : 1
; COMPUTE_PGM_RSRC2:SCRATCH_EN: 0
; COMPUTE_PGM_RSRC2:USER_SGPR: 2
; COMPUTE_PGM_RSRC2:TRAP_HANDLER: 0
; COMPUTE_PGM_RSRC2:TGID_X_EN: 1
; COMPUTE_PGM_RSRC2:TGID_Y_EN: 0
; COMPUTE_PGM_RSRC2:TGID_Z_EN: 0
; COMPUTE_PGM_RSRC2:TIDIG_COMP_CNT: 0
; COMPUTE_PGM_RSRC3_GFX90A:ACCUM_OFFSET: 22
; COMPUTE_PGM_RSRC3_GFX90A:TG_SPLIT: 0
	.text
	.p2alignl 6, 3212836864
	.fill 256, 4, 3212836864
	.type	__hip_cuid_38da122e993fb302,@object ; @__hip_cuid_38da122e993fb302
	.section	.bss,"aw",@nobits
	.globl	__hip_cuid_38da122e993fb302
__hip_cuid_38da122e993fb302:
	.byte	0                               ; 0x0
	.size	__hip_cuid_38da122e993fb302, 1

	.ident	"AMD clang version 19.0.0git (https://github.com/RadeonOpenCompute/llvm-project roc-6.4.0 25133 c7fe45cf4b819c5991fe208aaa96edf142730f1d)"
	.section	".note.GNU-stack","",@progbits
	.addrsig
	.addrsig_sym __hip_cuid_38da122e993fb302
	.amdgpu_metadata
---
amdhsa.kernels:
  - .agpr_count:     0
    .args:
      - .actual_access:  read_only
        .address_space:  global
        .offset:         0
        .size:           8
        .value_kind:     global_buffer
      - .offset:         8
        .size:           8
        .value_kind:     by_value
      - .actual_access:  read_only
        .address_space:  global
        .offset:         16
        .size:           8
        .value_kind:     global_buffer
      - .actual_access:  read_only
        .address_space:  global
        .offset:         24
        .size:           8
        .value_kind:     global_buffer
      - .actual_access:  read_only
        .address_space:  global
        .offset:         32
        .size:           8
        .value_kind:     global_buffer
      - .offset:         40
        .size:           8
        .value_kind:     by_value
      - .actual_access:  read_only
        .address_space:  global
        .offset:         48
        .size:           8
        .value_kind:     global_buffer
      - .actual_access:  read_only
        .address_space:  global
        .offset:         56
        .size:           8
        .value_kind:     global_buffer
      - .offset:         64
        .size:           4
        .value_kind:     by_value
      - .actual_access:  read_only
        .address_space:  global
        .offset:         72
        .size:           8
        .value_kind:     global_buffer
      - .actual_access:  read_only
        .address_space:  global
        .offset:         80
        .size:           8
        .value_kind:     global_buffer
      - .actual_access:  read_only
        .address_space:  global
        .offset:         88
        .size:           8
        .value_kind:     global_buffer
      - .actual_access:  write_only
        .address_space:  global
        .offset:         96
        .size:           8
        .value_kind:     global_buffer
    .group_segment_fixed_size: 0
    .kernarg_segment_align: 8
    .kernarg_segment_size: 104
    .language:       OpenCL C
    .language_version:
      - 2
      - 0
    .max_flat_workgroup_size: 220
    .name:           fft_rtc_fwd_len770_factors_11_10_7_wgs_220_tpt_110_sp_op_CI_CI_unitstride_sbrr_dirReg
    .private_segment_fixed_size: 0
    .sgpr_count:     38
    .sgpr_spill_count: 0
    .symbol:         fft_rtc_fwd_len770_factors_11_10_7_wgs_220_tpt_110_sp_op_CI_CI_unitstride_sbrr_dirReg.kd
    .uniform_work_group_size: 1
    .uses_dynamic_stack: false
    .vgpr_count:     92
    .vgpr_spill_count: 0
    .wavefront_size: 64
amdhsa.target:   amdgcn-amd-amdhsa--gfx950
amdhsa.version:
  - 1
  - 2
...

	.end_amdgpu_metadata
